;; amdgpu-corpus repo=ggml-org/llama.cpp kind=compiled arch=gfx1201 opt=O3
	.amdgcn_target "amdgcn-amd-amdhsa--gfx1201"
	.amdhsa_code_object_version 6
	.section	.text._ZL18opt_step_adamw_f32PfPKfS_S_S1_l,"axG",@progbits,_ZL18opt_step_adamw_f32PfPKfS_S_S1_l,comdat
	.globl	_ZL18opt_step_adamw_f32PfPKfS_S_S1_l ; -- Begin function _ZL18opt_step_adamw_f32PfPKfS_S_S1_l
	.p2align	8
	.type	_ZL18opt_step_adamw_f32PfPKfS_S_S1_l,@function
_ZL18opt_step_adamw_f32PfPKfS_S_S1_l:   ; @_ZL18opt_step_adamw_f32PfPKfS_S_S1_l
; %bb.0:
	s_clause 0x1
	s_load_b32 s4, s[0:1], 0x3c
	s_load_b64 s[2:3], s[0:1], 0x28
	v_mov_b32_e32 v1, 0
	s_wait_kmcnt 0x0
	s_and_b32 s4, s4, 0xffff
	s_delay_alu instid0(VALU_DEP_1) | instid1(SALU_CYCLE_1)
	v_mad_co_u64_u32 v[0:1], null, s4, ttmp9, v[0:1]
	s_delay_alu instid0(VALU_DEP_1)
	v_cmp_gt_i64_e32 vcc_lo, s[2:3], v[0:1]
	s_and_saveexec_b32 s2, vcc_lo
	s_cbranch_execz .LBB0_2
; %bb.1:
	s_load_b256 s[4:11], s[0:1], 0x0
	v_lshlrev_b64_e32 v[0:1], 2, v[0:1]
	s_load_b64 s[0:1], s[0:1], 0x20
	s_wait_kmcnt 0x0
	s_delay_alu instid0(VALU_DEP_1) | instskip(NEXT) | instid1(VALU_DEP_1)
	v_add_co_u32 v2, vcc_lo, s10, v0
	v_add_co_ci_u32_e64 v3, null, s11, v1, vcc_lo
	v_add_co_u32 v4, vcc_lo, s6, v0
	s_wait_alu 0xfffd
	v_add_co_ci_u32_e64 v5, null, s7, v1, vcc_lo
	global_load_b32 v6, v[2:3], off
	global_load_b32 v7, v[4:5], off
	v_add_co_u32 v4, vcc_lo, s8, v0
	s_wait_alu 0xfffd
	v_add_co_ci_u32_e64 v5, null, s9, v1, vcc_lo
	v_add_co_u32 v0, vcc_lo, s4, v0
	s_wait_alu 0xfffd
	v_add_co_ci_u32_e64 v1, null, s5, v1, vcc_lo
	global_load_b32 v8, v[4:5], off
	global_load_b32 v9, v[0:1], off
	s_clause 0x1
	s_load_b128 s[4:7], s[0:1], 0x0
	s_load_b96 s[8:10], s[0:1], 0x10
	s_wait_kmcnt 0x0
	s_sub_f32 s0, 1.0, s6
	s_wait_loadcnt 0x3
	v_mul_f32_e32 v6, s6, v6
	s_wait_loadcnt 0x2
	v_mul_f32_e32 v10, v7, v7
	s_wait_alu 0xfffe
	s_delay_alu instid0(VALU_DEP_1) | instskip(SKIP_2) | instid1(VALU_DEP_2)
	v_fmac_f32_e32 v6, s0, v10
	s_wait_loadcnt 0x1
	v_mul_f32_e32 v8, s5, v8
	v_mul_f32_e32 v10, s10, v6
	s_delay_alu instid0(VALU_DEP_1) | instskip(SKIP_2) | instid1(VALU_DEP_2)
	v_mul_f32_e32 v11, 0x4f800000, v10
	v_cmp_gt_f32_e32 vcc_lo, 0xf800000, v10
	s_wait_alu 0xfffd
	v_cndmask_b32_e32 v10, v10, v11, vcc_lo
	s_delay_alu instid0(VALU_DEP_1) | instskip(NEXT) | instid1(TRANS32_DEP_1)
	v_sqrt_f32_e32 v11, v10
	v_add_nc_u32_e32 v12, -1, v11
	v_add_nc_u32_e32 v13, 1, v11
	s_delay_alu instid0(VALU_DEP_2) | instskip(NEXT) | instid1(VALU_DEP_2)
	v_fma_f32 v14, -v12, v11, v10
	v_fma_f32 v15, -v13, v11, v10
	s_delay_alu instid0(VALU_DEP_2) | instskip(SKIP_1) | instid1(VALU_DEP_1)
	v_cmp_ge_f32_e64 s0, 0, v14
	s_wait_alu 0xf1ff
	v_cndmask_b32_e64 v11, v11, v12, s0
	s_delay_alu instid0(VALU_DEP_3) | instskip(SKIP_1) | instid1(VALU_DEP_1)
	v_cmp_lt_f32_e64 s0, 0, v15
	s_wait_alu 0xf1ff
	v_cndmask_b32_e64 v11, v11, v13, s0
	s_sub_f32 s0, 1.0, s5
	s_delay_alu instid0(VALU_DEP_1) | instskip(SKIP_1) | instid1(SALU_CYCLE_1)
	v_mul_f32_e32 v12, 0x37800000, v11
	s_wait_alu 0xfffe
	v_fmac_f32_e32 v8, s0, v7
	s_xor_b32 s0, s4, 0x80000000
	s_wait_alu 0xfffe
	s_fmaak_f32 s0, s0, s8, 0x3f800000
	v_cndmask_b32_e32 v7, v11, v12, vcc_lo
	v_cmp_class_f32_e64 vcc_lo, v10, 0x260
	v_mul_f32_e32 v11, s9, v8
	s_wait_alu 0xfffd
	s_delay_alu instid0(VALU_DEP_1) | instskip(NEXT) | instid1(VALU_DEP_1)
	v_dual_cndmask_b32 v7, v7, v10 :: v_dual_mul_f32 v10, s4, v11
	v_add_f32_e32 v7, s7, v7
	s_delay_alu instid0(VALU_DEP_1) | instskip(NEXT) | instid1(VALU_DEP_1)
	v_div_scale_f32 v11, null, v7, v7, v10
	v_rcp_f32_e32 v12, v11
	s_delay_alu instid0(TRANS32_DEP_1) | instskip(NEXT) | instid1(VALU_DEP_1)
	v_fma_f32 v13, -v11, v12, 1.0
	v_fmac_f32_e32 v12, v13, v12
	v_div_scale_f32 v13, vcc_lo, v10, v7, v10
	s_delay_alu instid0(VALU_DEP_1) | instskip(NEXT) | instid1(VALU_DEP_1)
	v_mul_f32_e32 v14, v13, v12
	v_fma_f32 v15, -v11, v14, v13
	s_delay_alu instid0(VALU_DEP_1) | instskip(NEXT) | instid1(VALU_DEP_1)
	v_fmac_f32_e32 v14, v15, v12
	v_fma_f32 v11, -v11, v14, v13
	s_wait_alu 0xfffd
	s_delay_alu instid0(VALU_DEP_1) | instskip(NEXT) | instid1(VALU_DEP_1)
	v_div_fmas_f32 v11, v11, v12, v14
	v_div_fixup_f32 v7, v11, v7, v10
	s_wait_loadcnt 0x0
	s_wait_alu 0xfffe
	s_delay_alu instid0(VALU_DEP_1)
	v_fma_f32 v7, s0, v9, -v7
	global_store_b32 v[4:5], v8, off
	global_store_b32 v[2:3], v6, off
	;; [unrolled: 1-line block ×3, first 2 shown]
.LBB0_2:
	s_endpgm
	.section	.rodata,"a",@progbits
	.p2align	6, 0x0
	.amdhsa_kernel _ZL18opt_step_adamw_f32PfPKfS_S_S1_l
		.amdhsa_group_segment_fixed_size 0
		.amdhsa_private_segment_fixed_size 0
		.amdhsa_kernarg_size 304
		.amdhsa_user_sgpr_count 2
		.amdhsa_user_sgpr_dispatch_ptr 0
		.amdhsa_user_sgpr_queue_ptr 0
		.amdhsa_user_sgpr_kernarg_segment_ptr 1
		.amdhsa_user_sgpr_dispatch_id 0
		.amdhsa_user_sgpr_private_segment_size 0
		.amdhsa_wavefront_size32 1
		.amdhsa_uses_dynamic_stack 0
		.amdhsa_enable_private_segment 0
		.amdhsa_system_sgpr_workgroup_id_x 1
		.amdhsa_system_sgpr_workgroup_id_y 0
		.amdhsa_system_sgpr_workgroup_id_z 0
		.amdhsa_system_sgpr_workgroup_info 0
		.amdhsa_system_vgpr_workitem_id 0
		.amdhsa_next_free_vgpr 16
		.amdhsa_next_free_sgpr 12
		.amdhsa_reserve_vcc 1
		.amdhsa_float_round_mode_32 0
		.amdhsa_float_round_mode_16_64 0
		.amdhsa_float_denorm_mode_32 3
		.amdhsa_float_denorm_mode_16_64 3
		.amdhsa_fp16_overflow 0
		.amdhsa_workgroup_processor_mode 1
		.amdhsa_memory_ordered 1
		.amdhsa_forward_progress 1
		.amdhsa_inst_pref_size 5
		.amdhsa_round_robin_scheduling 0
		.amdhsa_exception_fp_ieee_invalid_op 0
		.amdhsa_exception_fp_denorm_src 0
		.amdhsa_exception_fp_ieee_div_zero 0
		.amdhsa_exception_fp_ieee_overflow 0
		.amdhsa_exception_fp_ieee_underflow 0
		.amdhsa_exception_fp_ieee_inexact 0
		.amdhsa_exception_int_div_zero 0
	.end_amdhsa_kernel
	.section	.text._ZL18opt_step_adamw_f32PfPKfS_S_S1_l,"axG",@progbits,_ZL18opt_step_adamw_f32PfPKfS_S_S1_l,comdat
.Lfunc_end0:
	.size	_ZL18opt_step_adamw_f32PfPKfS_S_S1_l, .Lfunc_end0-_ZL18opt_step_adamw_f32PfPKfS_S_S1_l
                                        ; -- End function
	.set _ZL18opt_step_adamw_f32PfPKfS_S_S1_l.num_vgpr, 16
	.set _ZL18opt_step_adamw_f32PfPKfS_S_S1_l.num_agpr, 0
	.set _ZL18opt_step_adamw_f32PfPKfS_S_S1_l.numbered_sgpr, 12
	.set _ZL18opt_step_adamw_f32PfPKfS_S_S1_l.num_named_barrier, 0
	.set _ZL18opt_step_adamw_f32PfPKfS_S_S1_l.private_seg_size, 0
	.set _ZL18opt_step_adamw_f32PfPKfS_S_S1_l.uses_vcc, 1
	.set _ZL18opt_step_adamw_f32PfPKfS_S_S1_l.uses_flat_scratch, 0
	.set _ZL18opt_step_adamw_f32PfPKfS_S_S1_l.has_dyn_sized_stack, 0
	.set _ZL18opt_step_adamw_f32PfPKfS_S_S1_l.has_recursion, 0
	.set _ZL18opt_step_adamw_f32PfPKfS_S_S1_l.has_indirect_call, 0
	.section	.AMDGPU.csdata,"",@progbits
; Kernel info:
; codeLenInByte = 636
; TotalNumSgprs: 14
; NumVgprs: 16
; ScratchSize: 0
; MemoryBound: 0
; FloatMode: 240
; IeeeMode: 1
; LDSByteSize: 0 bytes/workgroup (compile time only)
; SGPRBlocks: 0
; VGPRBlocks: 1
; NumSGPRsForWavesPerEU: 14
; NumVGPRsForWavesPerEU: 16
; Occupancy: 16
; WaveLimiterHint : 0
; COMPUTE_PGM_RSRC2:SCRATCH_EN: 0
; COMPUTE_PGM_RSRC2:USER_SGPR: 2
; COMPUTE_PGM_RSRC2:TRAP_HANDLER: 0
; COMPUTE_PGM_RSRC2:TGID_X_EN: 1
; COMPUTE_PGM_RSRC2:TGID_Y_EN: 0
; COMPUTE_PGM_RSRC2:TGID_Z_EN: 0
; COMPUTE_PGM_RSRC2:TIDIG_COMP_CNT: 0
	.section	.AMDGPU.gpr_maximums,"",@progbits
	.set amdgpu.max_num_vgpr, 0
	.set amdgpu.max_num_agpr, 0
	.set amdgpu.max_num_sgpr, 0
	.section	.AMDGPU.csdata,"",@progbits
	.type	__hip_cuid_b6eaafa6a6e659f7,@object ; @__hip_cuid_b6eaafa6a6e659f7
	.section	.bss,"aw",@nobits
	.globl	__hip_cuid_b6eaafa6a6e659f7
__hip_cuid_b6eaafa6a6e659f7:
	.byte	0                               ; 0x0
	.size	__hip_cuid_b6eaafa6a6e659f7, 1

	.ident	"AMD clang version 22.0.0git (https://github.com/RadeonOpenCompute/llvm-project roc-7.2.4 26084 f58b06dce1f9c15707c5f808fd002e18c2accf7e)"
	.section	".note.GNU-stack","",@progbits
	.addrsig
	.addrsig_sym __hip_cuid_b6eaafa6a6e659f7
	.amdgpu_metadata
---
amdhsa.kernels:
  - .args:
      - .address_space:  global
        .offset:         0
        .size:           8
        .value_kind:     global_buffer
      - .actual_access:  read_only
        .address_space:  global
        .offset:         8
        .size:           8
        .value_kind:     global_buffer
      - .address_space:  global
        .offset:         16
        .size:           8
        .value_kind:     global_buffer
      - .address_space:  global
        .offset:         24
        .size:           8
        .value_kind:     global_buffer
      - .actual_access:  read_only
        .address_space:  global
        .offset:         32
        .size:           8
        .value_kind:     global_buffer
      - .offset:         40
        .size:           8
        .value_kind:     by_value
      - .offset:         48
        .size:           4
        .value_kind:     hidden_block_count_x
      - .offset:         52
        .size:           4
        .value_kind:     hidden_block_count_y
      - .offset:         56
        .size:           4
        .value_kind:     hidden_block_count_z
      - .offset:         60
        .size:           2
        .value_kind:     hidden_group_size_x
      - .offset:         62
        .size:           2
        .value_kind:     hidden_group_size_y
      - .offset:         64
        .size:           2
        .value_kind:     hidden_group_size_z
      - .offset:         66
        .size:           2
        .value_kind:     hidden_remainder_x
      - .offset:         68
        .size:           2
        .value_kind:     hidden_remainder_y
      - .offset:         70
        .size:           2
        .value_kind:     hidden_remainder_z
      - .offset:         88
        .size:           8
        .value_kind:     hidden_global_offset_x
      - .offset:         96
        .size:           8
        .value_kind:     hidden_global_offset_y
      - .offset:         104
        .size:           8
        .value_kind:     hidden_global_offset_z
      - .offset:         112
        .size:           2
        .value_kind:     hidden_grid_dims
    .group_segment_fixed_size: 0
    .kernarg_segment_align: 8
    .kernarg_segment_size: 304
    .language:       OpenCL C
    .language_version:
      - 2
      - 0
    .max_flat_workgroup_size: 1024
    .name:           _ZL18opt_step_adamw_f32PfPKfS_S_S1_l
    .private_segment_fixed_size: 0
    .sgpr_count:     14
    .sgpr_spill_count: 0
    .symbol:         _ZL18opt_step_adamw_f32PfPKfS_S_S1_l.kd
    .uniform_work_group_size: 1
    .uses_dynamic_stack: false
    .vgpr_count:     16
    .vgpr_spill_count: 0
    .wavefront_size: 32
    .workgroup_processor_mode: 1
amdhsa.target:   amdgcn-amd-amdhsa--gfx1201
amdhsa.version:
  - 1
  - 2
...

	.end_amdgpu_metadata
